;; amdgpu-corpus repo=ROCm/rocFFT kind=compiled arch=gfx950 opt=O3
	.text
	.amdgcn_target "amdgcn-amd-amdhsa--gfx950"
	.amdhsa_code_object_version 6
	.protected	fft_rtc_back_len1050_factors_2_3_5_5_7_wgs_210_tpt_210_sp_op_CI_CI_unitstride_sbrr_R2C_dirReg ; -- Begin function fft_rtc_back_len1050_factors_2_3_5_5_7_wgs_210_tpt_210_sp_op_CI_CI_unitstride_sbrr_R2C_dirReg
	.globl	fft_rtc_back_len1050_factors_2_3_5_5_7_wgs_210_tpt_210_sp_op_CI_CI_unitstride_sbrr_R2C_dirReg
	.p2align	8
	.type	fft_rtc_back_len1050_factors_2_3_5_5_7_wgs_210_tpt_210_sp_op_CI_CI_unitstride_sbrr_R2C_dirReg,@function
fft_rtc_back_len1050_factors_2_3_5_5_7_wgs_210_tpt_210_sp_op_CI_CI_unitstride_sbrr_R2C_dirReg: ; @fft_rtc_back_len1050_factors_2_3_5_5_7_wgs_210_tpt_210_sp_op_CI_CI_unitstride_sbrr_R2C_dirReg
; %bb.0:
	s_load_dwordx4 s[4:7], s[0:1], 0x58
	s_load_dwordx4 s[8:11], s[0:1], 0x0
	;; [unrolled: 1-line block ×3, first 2 shown]
	v_mul_u32_u24_e32 v1, 0x139, v0
	v_add_u32_sdwa v6, s2, v1 dst_sel:DWORD dst_unused:UNUSED_PAD src0_sel:DWORD src1_sel:WORD_1
	v_mov_b32_e32 v4, 0
	s_waitcnt lgkmcnt(0)
	v_cmp_lt_u64_e64 s[2:3], s[10:11], 2
	v_mov_b32_e32 v7, v4
	s_and_b64 vcc, exec, s[2:3]
	v_mov_b64_e32 v[2:3], 0
	s_cbranch_vccnz .LBB0_8
; %bb.1:
	s_load_dwordx2 s[2:3], s[0:1], 0x10
	s_add_u32 s16, s14, 8
	s_addc_u32 s17, s15, 0
	s_add_u32 s18, s12, 8
	s_addc_u32 s19, s13, 0
	s_waitcnt lgkmcnt(0)
	s_add_u32 s20, s2, 8
	v_mov_b64_e32 v[2:3], 0
	s_addc_u32 s21, s3, 0
	s_mov_b64 s[22:23], 1
	v_mov_b64_e32 v[12:13], v[2:3]
.LBB0_2:                                ; =>This Inner Loop Header: Depth=1
	s_load_dwordx2 s[24:25], s[20:21], 0x0
                                        ; implicit-def: $vgpr14_vgpr15
	s_waitcnt lgkmcnt(0)
	v_or_b32_e32 v5, s25, v7
	v_cmp_ne_u64_e32 vcc, 0, v[4:5]
	s_and_saveexec_b64 s[2:3], vcc
	s_xor_b64 s[26:27], exec, s[2:3]
	s_cbranch_execz .LBB0_4
; %bb.3:                                ;   in Loop: Header=BB0_2 Depth=1
	v_cvt_f32_u32_e32 v1, s24
	v_cvt_f32_u32_e32 v5, s25
	s_sub_u32 s2, 0, s24
	s_subb_u32 s3, 0, s25
	v_fmac_f32_e32 v1, 0x4f800000, v5
	v_rcp_f32_e32 v1, v1
	s_nop 0
	v_mul_f32_e32 v1, 0x5f7ffffc, v1
	v_mul_f32_e32 v5, 0x2f800000, v1
	v_trunc_f32_e32 v5, v5
	v_fmac_f32_e32 v1, 0xcf800000, v5
	v_cvt_u32_f32_e32 v5, v5
	v_cvt_u32_f32_e32 v1, v1
	v_mul_lo_u32 v8, s2, v5
	v_mul_hi_u32 v10, s2, v1
	v_mul_lo_u32 v9, s3, v1
	v_add_u32_e32 v10, v10, v8
	v_mul_lo_u32 v14, s2, v1
	v_add_u32_e32 v15, v10, v9
	v_mul_hi_u32 v8, v1, v14
	v_mul_hi_u32 v11, v1, v15
	v_mul_lo_u32 v10, v1, v15
	v_mov_b32_e32 v9, v4
	v_lshl_add_u64 v[8:9], v[8:9], 0, v[10:11]
	v_mul_hi_u32 v11, v5, v14
	v_mul_lo_u32 v14, v5, v14
	v_add_co_u32_e32 v8, vcc, v8, v14
	v_mul_hi_u32 v10, v5, v15
	s_nop 0
	v_addc_co_u32_e32 v8, vcc, v9, v11, vcc
	v_mov_b32_e32 v9, v4
	s_nop 0
	v_addc_co_u32_e32 v11, vcc, 0, v10, vcc
	v_mul_lo_u32 v10, v5, v15
	v_lshl_add_u64 v[8:9], v[8:9], 0, v[10:11]
	v_add_co_u32_e32 v1, vcc, v1, v8
	v_mul_lo_u32 v10, s2, v1
	s_nop 0
	v_addc_co_u32_e32 v5, vcc, v5, v9, vcc
	v_mul_lo_u32 v8, s2, v5
	v_mul_hi_u32 v9, s2, v1
	v_add_u32_e32 v8, v9, v8
	v_mul_lo_u32 v9, s3, v1
	v_add_u32_e32 v14, v8, v9
	v_mul_hi_u32 v16, v5, v10
	v_mul_lo_u32 v17, v5, v10
	v_mul_hi_u32 v9, v1, v14
	v_mul_lo_u32 v8, v1, v14
	v_mul_hi_u32 v10, v1, v10
	v_mov_b32_e32 v11, v4
	v_lshl_add_u64 v[8:9], v[10:11], 0, v[8:9]
	v_add_co_u32_e32 v8, vcc, v8, v17
	v_mul_hi_u32 v15, v5, v14
	s_nop 0
	v_addc_co_u32_e32 v8, vcc, v9, v16, vcc
	v_mul_lo_u32 v10, v5, v14
	s_nop 0
	v_addc_co_u32_e32 v11, vcc, 0, v15, vcc
	v_mov_b32_e32 v9, v4
	v_lshl_add_u64 v[8:9], v[8:9], 0, v[10:11]
	v_add_co_u32_e32 v1, vcc, v1, v8
	v_mul_hi_u32 v10, v6, v1
	s_nop 0
	v_addc_co_u32_e32 v5, vcc, v5, v9, vcc
	v_mad_u64_u32 v[8:9], s[2:3], v6, v5, 0
	v_mov_b32_e32 v11, v4
	v_lshl_add_u64 v[8:9], v[10:11], 0, v[8:9]
	v_mad_u64_u32 v[14:15], s[2:3], v7, v1, 0
	v_add_co_u32_e32 v1, vcc, v8, v14
	v_mad_u64_u32 v[10:11], s[2:3], v7, v5, 0
	s_nop 0
	v_addc_co_u32_e32 v8, vcc, v9, v15, vcc
	v_mov_b32_e32 v9, v4
	s_nop 0
	v_addc_co_u32_e32 v11, vcc, 0, v11, vcc
	v_lshl_add_u64 v[8:9], v[8:9], 0, v[10:11]
	v_mul_lo_u32 v1, s25, v8
	v_mul_lo_u32 v5, s24, v9
	v_mad_u64_u32 v[10:11], s[2:3], s24, v8, 0
	v_add3_u32 v1, v11, v5, v1
	v_sub_u32_e32 v5, v7, v1
	v_mov_b32_e32 v11, s25
	v_sub_co_u32_e32 v16, vcc, v6, v10
	v_lshl_add_u64 v[14:15], v[8:9], 0, 1
	s_nop 0
	v_subb_co_u32_e64 v5, s[2:3], v5, v11, vcc
	v_subrev_co_u32_e64 v10, s[2:3], s24, v16
	v_subb_co_u32_e32 v1, vcc, v7, v1, vcc
	s_nop 0
	v_subbrev_co_u32_e64 v5, s[2:3], 0, v5, s[2:3]
	v_cmp_le_u32_e64 s[2:3], s25, v5
	v_cmp_le_u32_e32 vcc, s25, v1
	s_nop 0
	v_cndmask_b32_e64 v11, 0, -1, s[2:3]
	v_cmp_le_u32_e64 s[2:3], s24, v10
	s_nop 1
	v_cndmask_b32_e64 v10, 0, -1, s[2:3]
	v_cmp_eq_u32_e64 s[2:3], s25, v5
	s_nop 1
	v_cndmask_b32_e64 v5, v11, v10, s[2:3]
	v_lshl_add_u64 v[10:11], v[8:9], 0, 2
	v_cmp_ne_u32_e64 s[2:3], 0, v5
	s_nop 1
	v_cndmask_b32_e64 v5, v15, v11, s[2:3]
	v_cndmask_b32_e64 v11, 0, -1, vcc
	v_cmp_le_u32_e32 vcc, s24, v16
	s_nop 1
	v_cndmask_b32_e64 v15, 0, -1, vcc
	v_cmp_eq_u32_e32 vcc, s25, v1
	s_nop 1
	v_cndmask_b32_e32 v1, v11, v15, vcc
	v_cmp_ne_u32_e32 vcc, 0, v1
	v_cndmask_b32_e64 v1, v14, v10, s[2:3]
	s_nop 0
	v_cndmask_b32_e32 v15, v9, v5, vcc
	v_cndmask_b32_e32 v14, v8, v1, vcc
.LBB0_4:                                ;   in Loop: Header=BB0_2 Depth=1
	s_andn2_saveexec_b64 s[2:3], s[26:27]
	s_cbranch_execz .LBB0_6
; %bb.5:                                ;   in Loop: Header=BB0_2 Depth=1
	v_cvt_f32_u32_e32 v1, s24
	s_sub_i32 s26, 0, s24
	v_mov_b32_e32 v15, v4
	v_rcp_iflag_f32_e32 v1, v1
	s_nop 0
	v_mul_f32_e32 v1, 0x4f7ffffe, v1
	v_cvt_u32_f32_e32 v1, v1
	v_mul_lo_u32 v5, s26, v1
	v_mul_hi_u32 v5, v1, v5
	v_add_u32_e32 v1, v1, v5
	v_mul_hi_u32 v1, v6, v1
	v_mul_lo_u32 v5, v1, s24
	v_sub_u32_e32 v5, v6, v5
	v_add_u32_e32 v8, 1, v1
	v_subrev_u32_e32 v9, s24, v5
	v_cmp_le_u32_e32 vcc, s24, v5
	s_nop 1
	v_cndmask_b32_e32 v5, v5, v9, vcc
	v_cndmask_b32_e32 v1, v1, v8, vcc
	v_add_u32_e32 v8, 1, v1
	v_cmp_le_u32_e32 vcc, s24, v5
	s_nop 1
	v_cndmask_b32_e32 v14, v1, v8, vcc
.LBB0_6:                                ;   in Loop: Header=BB0_2 Depth=1
	s_or_b64 exec, exec, s[2:3]
	v_mad_u64_u32 v[8:9], s[2:3], v14, s24, 0
	s_load_dwordx2 s[2:3], s[18:19], 0x0
	v_mul_lo_u32 v1, v15, s24
	v_mul_lo_u32 v5, v14, s25
	s_load_dwordx2 s[24:25], s[16:17], 0x0
	s_add_u32 s22, s22, 1
	v_add3_u32 v1, v9, v5, v1
	v_sub_co_u32_e32 v5, vcc, v6, v8
	s_addc_u32 s23, s23, 0
	s_nop 0
	v_subb_co_u32_e32 v1, vcc, v7, v1, vcc
	s_add_u32 s16, s16, 8
	s_waitcnt lgkmcnt(0)
	v_mul_lo_u32 v6, s2, v1
	v_mul_lo_u32 v7, s3, v5
	v_mad_u64_u32 v[2:3], s[2:3], s2, v5, v[2:3]
	s_addc_u32 s17, s17, 0
	v_add3_u32 v3, v7, v3, v6
	v_mul_lo_u32 v1, s24, v1
	v_mul_lo_u32 v6, s25, v5
	v_mad_u64_u32 v[12:13], s[2:3], s24, v5, v[12:13]
	s_add_u32 s18, s18, 8
	v_add3_u32 v13, v6, v13, v1
	s_addc_u32 s19, s19, 0
	v_mov_b64_e32 v[6:7], s[10:11]
	s_add_u32 s20, s20, 8
	v_cmp_ge_u64_e32 vcc, s[22:23], v[6:7]
	s_addc_u32 s21, s21, 0
	s_cbranch_vccnz .LBB0_9
; %bb.7:                                ;   in Loop: Header=BB0_2 Depth=1
	v_mov_b64_e32 v[6:7], v[14:15]
	s_branch .LBB0_2
.LBB0_8:
	v_mov_b64_e32 v[12:13], v[2:3]
	v_mov_b64_e32 v[14:15], v[6:7]
.LBB0_9:
	s_load_dwordx2 s[18:19], s[0:1], 0x28
	s_lshl_b64 s[16:17], s[10:11], 3
	s_add_u32 s2, s14, s16
	s_addc_u32 s3, s15, s17
                                        ; implicit-def: $vgpr16
                                        ; implicit-def: $vgpr18
                                        ; implicit-def: $vgpr20
	s_waitcnt lgkmcnt(0)
	v_cmp_gt_u64_e64 s[0:1], s[18:19], v[14:15]
	v_cmp_le_u64_e32 vcc, s[18:19], v[14:15]
	s_and_saveexec_b64 s[10:11], vcc
	s_xor_b64 s[10:11], exec, s[10:11]
; %bb.10:
	s_mov_b32 s14, 0x1381382
	v_mul_hi_u32 v1, v0, s14
	v_mul_u32_u24_e32 v1, 0xd2, v1
	v_sub_u32_e32 v16, v0, v1
	v_add_u32_e32 v18, 0xd2, v16
	v_add_u32_e32 v20, 0x1a4, v16
                                        ; implicit-def: $vgpr0
                                        ; implicit-def: $vgpr2_vgpr3
; %bb.11:
	s_andn2_saveexec_b64 s[10:11], s[10:11]
	s_cbranch_execz .LBB0_13
; %bb.12:
	s_add_u32 s12, s12, s16
	s_addc_u32 s13, s13, s17
	s_load_dwordx2 s[12:13], s[12:13], 0x0
	s_mov_b32 s14, 0x1381382
	s_waitcnt lgkmcnt(0)
	v_mul_lo_u32 v1, s13, v14
	v_mul_lo_u32 v6, s12, v15
	v_mad_u64_u32 v[4:5], s[12:13], s12, v14, 0
	v_add3_u32 v5, v5, v6, v1
	v_mul_hi_u32 v1, v0, s14
	v_mul_u32_u24_e32 v1, 0xd2, v1
	v_sub_u32_e32 v16, v0, v1
	v_lshl_add_u64 v[0:1], v[4:5], 3, s[4:5]
	v_lshl_add_u64 v[0:1], v[2:3], 3, v[0:1]
	v_lshlrev_b32_e32 v2, 3, v16
	v_mov_b32_e32 v3, 0
	v_lshl_add_u64 v[0:1], v[0:1], 0, v[2:3]
	v_add_co_u32_e32 v4, vcc, 0x1000, v0
	v_add_u32_e32 v18, 0xd2, v16
	s_nop 0
	v_addc_co_u32_e32 v5, vcc, 0, v1, vcc
	global_load_dwordx2 v[6:7], v[0:1], off
	global_load_dwordx2 v[8:9], v[0:1], off offset:1680
	global_load_dwordx2 v[10:11], v[0:1], off offset:3360
	;; [unrolled: 1-line block ×4, first 2 shown]
	v_add_u32_e32 v20, 0x1a4, v16
	v_add_u32_e32 v0, 0, v2
	;; [unrolled: 1-line block ×3, first 2 shown]
	s_waitcnt vmcnt(3)
	ds_write2_b64 v0, v[6:7], v[8:9] offset1:210
	s_waitcnt vmcnt(1)
	ds_write2_b64 v1, v[10:11], v[22:23] offset0:36 offset1:246
	s_waitcnt vmcnt(0)
	ds_write_b64 v0, v[24:25] offset:6720
.LBB0_13:
	s_or_b64 exec, exec, s[10:11]
	v_lshlrev_b32_e32 v17, 3, v16
	v_add_u32_e32 v21, 0, v17
	v_add_u32_e32 v4, 0xc00, v21
	s_load_dwordx2 s[4:5], s[2:3], 0x0
	s_waitcnt lgkmcnt(0)
	s_barrier
	ds_read2_b64 v[6:9], v21 offset1:210
	v_add_u32_e32 v0, 0x1600, v21
	ds_read2_b64 v[22:25], v4 offset0:36 offset1:141
	ds_read2_b64 v[0:3], v0 offset0:31 offset1:241
	v_add_u32_e32 v19, v21, v17
	s_movk_i32 s2, 0x69
	s_waitcnt lgkmcnt(0)
	v_pk_add_f32 v[10:11], v[6:7], v[24:25] neg_lo:[0,1] neg_hi:[0,1]
	v_pk_add_f32 v[0:1], v[8:9], v[0:1] neg_lo:[0,1] neg_hi:[0,1]
	;; [unrolled: 1-line block ×3, first 2 shown]
	v_pk_fma_f32 v[6:7], v[6:7], 2.0, v[10:11] op_sel_hi:[1,0,1] neg_lo:[0,0,1] neg_hi:[0,0,1]
	v_pk_fma_f32 v[2:3], v[22:23], 2.0, v[4:5] op_sel_hi:[1,0,1] neg_lo:[0,0,1] neg_hi:[0,0,1]
	s_barrier
	ds_write2_b64 v19, v[6:7], v[10:11] offset1:1
	v_lshl_add_u32 v28, v18, 4, 0
	v_pk_fma_f32 v[6:7], v[8:9], 2.0, v[0:1] op_sel_hi:[1,0,1] neg_lo:[0,0,1] neg_hi:[0,0,1]
	v_cmp_gt_u32_e32 vcc, s2, v16
	ds_write2_b64 v28, v[6:7], v[0:1] offset1:1
	s_and_saveexec_b64 s[2:3], vcc
	s_cbranch_execz .LBB0_15
; %bb.14:
	v_lshl_add_u32 v6, v20, 4, 0
	ds_write2_b64 v6, v[2:3], v[4:5] offset1:1
.LBB0_15:
	s_or_b64 exec, exec, s[2:3]
	s_waitcnt lgkmcnt(0)
	s_barrier
	ds_read_b64 v[6:7], v21
	ds_read_b64 v[10:11], v21 offset:2800
	ds_read_b64 v[8:9], v21 offset:5600
	s_movk_i32 s2, 0x8c
	v_cmp_gt_u32_e64 s[2:3], s2, v16
	v_lshlrev_b32_e32 v19, 3, v18
	s_and_saveexec_b64 s[10:11], s[2:3]
	s_cbranch_execz .LBB0_17
; %bb.16:
	v_sub_u32_e32 v0, v28, v19
	ds_read_b64 v[2:3], v21 offset:4480
	ds_read_b64 v[0:1], v0
	ds_read_b64 v[4:5], v21 offset:7280
.LBB0_17:
	s_or_b64 exec, exec, s[10:11]
	v_and_b32_e32 v29, 1, v16
	v_lshlrev_b32_e32 v22, 4, v29
	global_load_dwordx4 v[30:33], v22, s[8:9]
	v_lshrrev_b32_e32 v23, 1, v16
	v_mul_u32_u24_e32 v23, 6, v23
	s_waitcnt lgkmcnt(2)
	v_mov_b32_e32 v22, v3
	s_waitcnt lgkmcnt(0)
	v_mov_b32_e32 v24, v5
	v_or_b32_e32 v23, v23, v29
	v_lshl_add_u32 v40, v23, 3, 0
	s_mov_b32 s10, 0x3f5db3d7
	s_barrier
	s_waitcnt vmcnt(0)
	v_pk_mul_f32 v[22:23], v[22:23], v[30:31] op_sel_hi:[0,1]
	v_pk_mul_f32 v[34:35], v[24:25], v[32:33] op_sel_hi:[0,1]
	v_pk_mul_f32 v[36:37], v[30:31], v[10:11] op_sel:[0,1]
	v_pk_mul_f32 v[38:39], v[32:33], v[8:9] op_sel:[0,1]
	v_pk_fma_f32 v[24:25], v[2:3], v[30:31], v[22:23] op_sel:[0,0,1] op_sel_hi:[1,1,0]
	v_pk_fma_f32 v[2:3], v[2:3], v[30:31], v[22:23] op_sel:[0,0,1] op_sel_hi:[0,1,0] neg_lo:[1,0,0] neg_hi:[1,0,0]
	v_pk_fma_f32 v[26:27], v[4:5], v[32:33], v[34:35] op_sel:[0,0,1] op_sel_hi:[1,1,0]
	v_pk_fma_f32 v[4:5], v[4:5], v[32:33], v[34:35] op_sel:[0,0,1] op_sel_hi:[0,1,0] neg_lo:[1,0,0] neg_hi:[1,0,0]
	v_pk_fma_f32 v[22:23], v[30:31], v[10:11], v[36:37] op_sel:[0,0,1] op_sel_hi:[1,1,0]
	v_pk_fma_f32 v[10:11], v[30:31], v[10:11], v[36:37] op_sel:[0,0,1] op_sel_hi:[1,0,0] neg_lo:[1,0,0] neg_hi:[1,0,0]
	v_pk_fma_f32 v[30:31], v[32:33], v[8:9], v[38:39] op_sel:[0,0,1] op_sel_hi:[1,1,0]
	v_pk_fma_f32 v[8:9], v[32:33], v[8:9], v[38:39] op_sel:[0,0,1] op_sel_hi:[1,0,0] neg_lo:[1,0,0] neg_hi:[1,0,0]
	v_mov_b32_e32 v25, v3
	v_mov_b32_e32 v27, v5
	;; [unrolled: 1-line block ×4, first 2 shown]
	v_pk_add_f32 v[2:3], v[24:25], v[26:27]
	v_pk_add_f32 v[4:5], v[24:25], v[26:27] neg_lo:[0,1] neg_hi:[0,1]
	v_pk_add_f32 v[8:9], v[22:23], v[6:7]
	v_pk_add_f32 v[10:11], v[22:23], v[30:31]
	v_pk_add_f32 v[22:23], v[22:23], v[30:31] neg_lo:[0,1] neg_hi:[0,1]
	v_pk_fma_f32 v[2:3], v[2:3], 0.5, v[0:1] op_sel_hi:[1,0,1] neg_lo:[1,0,0] neg_hi:[1,0,0]
	v_pk_mul_f32 v[4:5], v[4:5], s[10:11] op_sel_hi:[1,0]
	v_pk_fma_f32 v[6:7], v[10:11], 0.5, v[6:7] op_sel_hi:[1,0,1] neg_lo:[1,0,0] neg_hi:[1,0,0]
	v_pk_mul_f32 v[10:11], v[22:23], s[10:11] op_sel_hi:[1,0]
	v_pk_add_f32 v[22:23], v[2:3], v[4:5] op_sel:[0,1] op_sel_hi:[1,0]
	v_pk_add_f32 v[2:3], v[2:3], v[4:5] op_sel:[0,1] op_sel_hi:[1,0] neg_lo:[0,1] neg_hi:[0,1]
	v_pk_add_f32 v[4:5], v[6:7], v[10:11] op_sel:[0,1] op_sel_hi:[1,0] neg_lo:[0,1] neg_hi:[0,1]
	v_pk_add_f32 v[6:7], v[6:7], v[10:11] op_sel:[0,1] op_sel_hi:[1,0]
	v_pk_add_f32 v[8:9], v[8:9], v[30:31]
	v_mov_b32_e32 v10, v4
	v_mov_b32_e32 v11, v7
	;; [unrolled: 1-line block ×3, first 2 shown]
	ds_write2_b64 v40, v[8:9], v[10:11] offset1:2
	ds_write_b64 v40, v[6:7] offset:32
	s_and_saveexec_b64 s[10:11], s[2:3]
	s_cbranch_execz .LBB0_19
; %bb.18:
	v_lshrrev_b32_e32 v4, 1, v18
	v_mul_lo_u32 v4, v4, 6
	v_or_b32_e32 v4, v4, v29
	v_pk_add_f32 v[0:1], v[0:1], v[24:25]
	v_lshl_add_u32 v6, v4, 3, 0
	v_pk_add_f32 v[0:1], v[0:1], v[26:27]
	v_mov_b32_e32 v4, v2
	v_mov_b32_e32 v5, v23
	v_mov_b32_e32 v23, v3
	ds_write2_b64 v6, v[0:1], v[4:5] offset1:2
	ds_write_b64 v6, v[22:23] offset:32
.LBB0_19:
	s_or_b64 exec, exec, s[10:11]
	s_movk_i32 s2, 0xab
	v_mul_lo_u16_sdwa v0, v16, s2 dst_sel:DWORD dst_unused:UNUSED_PAD src0_sel:BYTE_0 src1_sel:DWORD
	v_lshrrev_b16_e32 v2, 10, v0
	v_mul_lo_u16_e32 v0, 6, v2
	v_sub_u16_e32 v29, v16, v0
	v_mov_b32_e32 v34, 5
	v_lshlrev_b32_sdwa v0, v34, v29 dst_sel:DWORD dst_unused:UNUSED_PAD src0_sel:DWORD src1_sel:BYTE_0
	s_waitcnt lgkmcnt(0)
	s_barrier
	global_load_dwordx4 v[4:7], v0, s[8:9] offset:32
	global_load_dwordx4 v[8:11], v0, s[8:9] offset:48
	v_sub_u32_e32 v44, v28, v19
	ds_read2_b32 v[0:1], v21 offset1:1
	v_lshl_add_u32 v23, v20, 3, 0
	v_add_u32_e32 v45, 0x1300, v21
	s_movk_i32 s3, 0x89
	ds_read_b64 v[30:31], v44
	ds_read_b64 v[32:33], v23
	ds_read2_b64 v[24:27], v45 offset0:22 offset1:232
	v_mul_lo_u16_sdwa v35, v16, s3 dst_sel:DWORD dst_unused:UNUSED_PAD src0_sel:BYTE_0 src1_sel:DWORD
	v_lshrrev_b16_e32 v47, 12, v35
	v_mul_lo_u16_e32 v35, 30, v47
	v_sub_u16_e32 v48, v16, v35
	v_lshlrev_b32_sdwa v49, v34, v48 dst_sel:DWORD dst_unused:UNUSED_PAD src0_sel:DWORD src1_sel:BYTE_0
	s_mov_b32 s10, 0x3f737871
	s_mov_b32 s12, 0x3f167918
	v_mov_b32_e32 v46, 3
	s_mov_b32 s2, 0x3e9e377a
	v_mul_u32_u24_e32 v2, 0xf0, v2
	v_lshlrev_b32_sdwa v29, v46, v29 dst_sel:DWORD dst_unused:UNUSED_PAD src0_sel:DWORD src1_sel:BYTE_0
	v_add3_u32 v2, 0, v2, v29
	s_waitcnt lgkmcnt(0)
	s_barrier
	s_waitcnt vmcnt(1)
	v_pk_mul_f32 v[34:35], v[4:5], v[30:31] op_sel:[0,1]
	v_pk_mul_f32 v[36:37], v[6:7], v[32:33] op_sel:[0,1]
	s_waitcnt vmcnt(0)
	v_pk_mul_f32 v[38:39], v[8:9], v[24:25] op_sel:[0,1]
	v_pk_mul_f32 v[40:41], v[10:11], v[26:27] op_sel:[0,1]
	v_pk_fma_f32 v[42:43], v[4:5], v[30:31], v[34:35] op_sel:[0,0,1] op_sel_hi:[1,1,0]
	v_pk_fma_f32 v[4:5], v[4:5], v[30:31], v[34:35] op_sel:[0,0,1] op_sel_hi:[1,0,0] neg_lo:[1,0,0] neg_hi:[1,0,0]
	v_pk_fma_f32 v[30:31], v[6:7], v[32:33], v[36:37] op_sel:[0,0,1] op_sel_hi:[1,1,0]
	v_pk_fma_f32 v[6:7], v[6:7], v[32:33], v[36:37] op_sel:[0,0,1] op_sel_hi:[1,0,0] neg_lo:[1,0,0] neg_hi:[1,0,0]
	;; [unrolled: 2-line block ×4, first 2 shown]
	v_mov_b32_e32 v43, v5
	v_mov_b32_e32 v31, v7
	;; [unrolled: 1-line block ×4, first 2 shown]
	v_pk_add_f32 v[4:5], v[42:43], v[0:1]
	v_pk_add_f32 v[6:7], v[30:31], v[32:33]
	v_pk_add_f32 v[8:9], v[42:43], v[24:25] neg_lo:[0,1] neg_hi:[0,1]
	v_pk_add_f32 v[10:11], v[30:31], v[32:33] neg_lo:[0,1] neg_hi:[0,1]
	v_pk_add_f32 v[36:37], v[42:43], v[24:25]
	v_pk_add_f32 v[26:27], v[42:43], v[30:31] neg_lo:[0,1] neg_hi:[0,1]
	v_pk_add_f32 v[38:39], v[30:31], v[42:43] neg_lo:[0,1] neg_hi:[0,1]
	v_pk_add_f32 v[4:5], v[4:5], v[30:31]
	v_pk_fma_f32 v[6:7], v[6:7], 0.5, v[0:1] op_sel_hi:[1,0,1] neg_lo:[1,0,0] neg_hi:[1,0,0]
	v_pk_mul_f32 v[30:31], v[8:9], s[10:11] op_sel_hi:[1,0]
	v_pk_mul_f32 v[42:43], v[10:11], s[12:13] op_sel_hi:[1,0]
	v_pk_fma_f32 v[0:1], v[36:37], 0.5, v[0:1] op_sel_hi:[1,0,1] neg_lo:[1,0,0] neg_hi:[1,0,0]
	v_pk_mul_f32 v[10:11], v[10:11], s[10:11] op_sel_hi:[1,0]
	v_pk_add_f32 v[34:35], v[24:25], v[32:33] neg_lo:[0,1] neg_hi:[0,1]
	v_pk_add_f32 v[40:41], v[32:33], v[24:25] neg_lo:[0,1] neg_hi:[0,1]
	v_pk_mul_f32 v[8:9], v[8:9], s[12:13] op_sel_hi:[1,0]
	v_pk_add_f32 v[4:5], v[4:5], v[32:33]
	v_pk_add_f32 v[32:33], v[6:7], v[30:31] op_sel:[0,1] op_sel_hi:[1,0] neg_lo:[0,1] neg_hi:[0,1]
	v_pk_add_f32 v[6:7], v[6:7], v[30:31] op_sel:[0,1] op_sel_hi:[1,0]
	v_pk_add_f32 v[30:31], v[0:1], v[10:11] op_sel:[0,1] op_sel_hi:[1,0]
	v_pk_add_f32 v[0:1], v[0:1], v[10:11] op_sel:[0,1] op_sel_hi:[1,0] neg_lo:[0,1] neg_hi:[0,1]
	v_pk_add_f32 v[6:7], v[6:7], v[42:43] op_sel:[0,1] op_sel_hi:[1,0]
	v_pk_add_f32 v[10:11], v[32:33], v[42:43] op_sel:[0,1] op_sel_hi:[1,0] neg_lo:[0,1] neg_hi:[0,1]
	;; [unrolled: 2-line block ×3, first 2 shown]
	v_pk_add_f32 v[26:27], v[26:27], v[34:35]
	v_pk_add_f32 v[34:35], v[38:39], v[40:41]
	;; [unrolled: 1-line block ×3, first 2 shown]
	v_mov_b32_e32 v24, v10
	v_mov_b32_e32 v25, v7
	;; [unrolled: 1-line block ×6, first 2 shown]
	v_pk_fma_f32 v[8:9], v[26:27], s[2:3], v[24:25] op_sel_hi:[1,0,1]
	v_pk_fma_f32 v[10:11], v[34:35], s[2:3], v[30:31] op_sel_hi:[1,0,1]
	v_pk_fma_f32 v[6:7], v[26:27], s[2:3], v[6:7] op_sel_hi:[1,0,1]
	v_pk_fma_f32 v[0:1], v[34:35], s[2:3], v[0:1] op_sel_hi:[1,0,1]
	ds_write2_b64 v2, v[4:5], v[8:9] offset1:6
	ds_write2_b64 v2, v[10:11], v[0:1] offset0:12 offset1:18
	ds_write_b64 v2, v[6:7] offset:192
	s_waitcnt lgkmcnt(0)
	s_barrier
	global_load_dwordx4 v[4:7], v49, s[8:9] offset:224
	global_load_dwordx4 v[8:11], v49, s[8:9] offset:240
	v_mul_u32_u24_e32 v0, 0x4b0, v47
	v_lshlrev_b32_sdwa v1, v46, v48 dst_sel:DWORD dst_unused:UNUSED_PAD src0_sel:DWORD src1_sel:BYTE_0
	v_add3_u32 v2, 0, v0, v1
	ds_read2_b32 v[0:1], v21 offset1:1
	ds_read_b64 v[30:31], v44
	ds_read_b64 v[32:33], v23
	ds_read2_b64 v[24:27], v45 offset0:22 offset1:232
	s_movk_i32 s3, 0x96
	s_waitcnt lgkmcnt(0)
	s_barrier
	s_waitcnt vmcnt(1)
	v_pk_mul_f32 v[34:35], v[4:5], v[30:31] op_sel:[0,1]
	v_pk_mul_f32 v[36:37], v[6:7], v[32:33] op_sel:[0,1]
	s_waitcnt vmcnt(0)
	v_pk_mul_f32 v[38:39], v[8:9], v[24:25] op_sel:[0,1]
	v_pk_mul_f32 v[40:41], v[10:11], v[26:27] op_sel:[0,1]
	v_pk_fma_f32 v[42:43], v[4:5], v[30:31], v[34:35] op_sel:[0,0,1] op_sel_hi:[1,1,0]
	v_pk_fma_f32 v[4:5], v[4:5], v[30:31], v[34:35] op_sel:[0,0,1] op_sel_hi:[1,0,0] neg_lo:[1,0,0] neg_hi:[1,0,0]
	v_pk_fma_f32 v[30:31], v[6:7], v[32:33], v[36:37] op_sel:[0,0,1] op_sel_hi:[1,1,0]
	v_pk_fma_f32 v[6:7], v[6:7], v[32:33], v[36:37] op_sel:[0,0,1] op_sel_hi:[1,0,0] neg_lo:[1,0,0] neg_hi:[1,0,0]
	v_pk_fma_f32 v[32:33], v[8:9], v[24:25], v[38:39] op_sel:[0,0,1] op_sel_hi:[1,1,0]
	v_pk_fma_f32 v[8:9], v[8:9], v[24:25], v[38:39] op_sel:[0,0,1] op_sel_hi:[1,0,0] neg_lo:[1,0,0] neg_hi:[1,0,0]
	v_pk_fma_f32 v[24:25], v[10:11], v[26:27], v[40:41] op_sel:[0,0,1] op_sel_hi:[1,1,0]
	v_pk_fma_f32 v[10:11], v[10:11], v[26:27], v[40:41] op_sel:[0,0,1] op_sel_hi:[1,0,0] neg_lo:[1,0,0] neg_hi:[1,0,0]
	v_mov_b32_e32 v43, v5
	v_mov_b32_e32 v31, v7
	;; [unrolled: 1-line block ×4, first 2 shown]
	v_pk_add_f32 v[4:5], v[42:43], v[0:1]
	v_pk_add_f32 v[6:7], v[30:31], v[32:33]
	v_pk_add_f32 v[8:9], v[42:43], v[24:25] neg_lo:[0,1] neg_hi:[0,1]
	v_pk_add_f32 v[10:11], v[30:31], v[32:33] neg_lo:[0,1] neg_hi:[0,1]
	v_pk_add_f32 v[36:37], v[42:43], v[24:25]
	v_pk_add_f32 v[26:27], v[42:43], v[30:31] neg_lo:[0,1] neg_hi:[0,1]
	v_pk_add_f32 v[38:39], v[30:31], v[42:43] neg_lo:[0,1] neg_hi:[0,1]
	v_pk_add_f32 v[4:5], v[4:5], v[30:31]
	v_pk_fma_f32 v[6:7], v[6:7], 0.5, v[0:1] op_sel_hi:[1,0,1] neg_lo:[1,0,0] neg_hi:[1,0,0]
	v_pk_mul_f32 v[30:31], v[8:9], s[10:11] op_sel_hi:[1,0]
	v_pk_mul_f32 v[42:43], v[10:11], s[12:13] op_sel_hi:[1,0]
	v_pk_fma_f32 v[0:1], v[36:37], 0.5, v[0:1] op_sel_hi:[1,0,1] neg_lo:[1,0,0] neg_hi:[1,0,0]
	v_pk_mul_f32 v[10:11], v[10:11], s[10:11] op_sel_hi:[1,0]
	v_pk_add_f32 v[34:35], v[24:25], v[32:33] neg_lo:[0,1] neg_hi:[0,1]
	v_pk_add_f32 v[40:41], v[32:33], v[24:25] neg_lo:[0,1] neg_hi:[0,1]
	v_pk_mul_f32 v[8:9], v[8:9], s[12:13] op_sel_hi:[1,0]
	v_pk_add_f32 v[4:5], v[4:5], v[32:33]
	v_pk_add_f32 v[32:33], v[6:7], v[30:31] op_sel:[0,1] op_sel_hi:[1,0] neg_lo:[0,1] neg_hi:[0,1]
	v_pk_add_f32 v[6:7], v[6:7], v[30:31] op_sel:[0,1] op_sel_hi:[1,0]
	v_pk_add_f32 v[30:31], v[0:1], v[10:11] op_sel:[0,1] op_sel_hi:[1,0]
	v_pk_add_f32 v[0:1], v[0:1], v[10:11] op_sel:[0,1] op_sel_hi:[1,0] neg_lo:[0,1] neg_hi:[0,1]
	v_pk_add_f32 v[4:5], v[4:5], v[24:25]
	v_pk_add_f32 v[24:25], v[32:33], v[42:43] op_sel:[0,1] op_sel_hi:[1,0] neg_lo:[0,1] neg_hi:[0,1]
	v_pk_add_f32 v[6:7], v[6:7], v[42:43] op_sel:[0,1] op_sel_hi:[1,0]
	v_pk_add_f32 v[30:31], v[30:31], v[8:9] op_sel:[0,1] op_sel_hi:[1,0] neg_lo:[0,1] neg_hi:[0,1]
	v_pk_add_f32 v[0:1], v[0:1], v[8:9] op_sel:[0,1] op_sel_hi:[1,0]
	v_pk_add_f32 v[26:27], v[26:27], v[34:35]
	v_pk_add_f32 v[34:35], v[38:39], v[40:41]
	v_mov_b32_e32 v8, v6
	v_mov_b32_e32 v9, v25
	;; [unrolled: 1-line block ×6, first 2 shown]
	v_pk_fma_f32 v[0:1], v[26:27], s[2:3], v[8:9] op_sel_hi:[1,0,1]
	v_pk_fma_f32 v[10:11], v[34:35], s[2:3], v[10:11] op_sel_hi:[1,0,1]
	;; [unrolled: 1-line block ×4, first 2 shown]
	v_cmp_gt_u32_e64 s[2:3], s3, v16
	ds_write2_b64 v2, v[4:5], v[6:7] offset1:30
	ds_write2_b64 v2, v[8:9], v[10:11] offset0:60 offset1:90
	ds_write_b64 v2, v[0:1] offset:960
	s_waitcnt lgkmcnt(0)
	s_barrier
	s_waitcnt lgkmcnt(0)
                                        ; implicit-def: $vgpr25
	s_and_saveexec_b64 s[10:11], s[2:3]
	s_cbranch_execz .LBB0_21
; %bb.20:
	v_add_u32_e32 v0, 0x800, v21
	ds_read2_b64 v[8:11], v0 offset0:44 offset1:194
	v_add_u32_e32 v0, 0x1000, v21
	ds_read2_b64 v[4:7], v21 offset1:150
	ds_read2_b64 v[0:3], v0 offset0:88 offset1:238
	ds_read_b64 v[24:25], v21 offset:7200
	s_waitcnt lgkmcnt(1)
	v_mov_b32_e32 v22, v2
.LBB0_21:
	s_or_b64 exec, exec, s[10:11]
	s_waitcnt lgkmcnt(0)
	s_barrier
	s_and_saveexec_b64 s[10:11], s[2:3]
	s_cbranch_execz .LBB0_23
; %bb.22:
	v_add_u32_e32 v2, 0xffffff6a, v16
	v_cndmask_b32_e64 v2, v2, v16, s[2:3]
	v_mul_i32_i24_e32 v26, 6, v2
	v_mov_b32_e32 v27, 0
	v_lshl_add_u64 v[26:27], v[26:27], 3, s[8:9]
	global_load_dwordx4 v[30:33], v[26:27], off offset:1200
	global_load_dwordx4 v[34:37], v[26:27], off offset:1184
	;; [unrolled: 1-line block ×3, first 2 shown]
	v_mov_b32_e32 v42, v25
	v_mov_b32_e32 v44, v25
	;; [unrolled: 1-line block ×10, first 2 shown]
	s_mov_b32 s12, 0xbeae86e6
	s_mov_b32 s13, 0x3f08b237
	;; [unrolled: 1-line block ×7, first 2 shown]
	s_waitcnt vmcnt(2)
	v_mov_b32_e32 v58, v33
	v_mov_b32_e32 v59, v32
	s_waitcnt vmcnt(0)
	v_pk_mul_f32 v[24:25], v[24:25], v[40:41] op_sel_hi:[0,1]
	v_pk_fma_f32 v[42:43], v[42:43], v[40:41], v[24:25] op_sel:[0,0,1] op_sel_hi:[1,1,0] neg_lo:[0,0,1] neg_hi:[0,0,1]
	v_pk_fma_f32 v[24:25], v[44:45], v[40:41], v[24:25] op_sel:[0,0,1] op_sel_hi:[0,1,0]
	v_pk_mul_f32 v[40:41], v[22:23], v[38:39] op_sel_hi:[0,1]
	v_pk_mul_f32 v[6:7], v[6:7], v[34:35] op_sel_hi:[0,1]
	;; [unrolled: 1-line block ×3, first 2 shown]
	v_pk_fma_f32 v[44:45], v[54:55], v[38:39], v[40:41] op_sel:[0,0,1] op_sel_hi:[1,1,0] neg_lo:[0,0,1] neg_hi:[0,0,1]
	v_pk_fma_f32 v[38:39], v[56:57], v[38:39], v[40:41] op_sel:[0,0,1] op_sel_hi:[0,1,0]
	v_pk_mul_f32 v[40:41], v[10:11], v[30:31] op_sel:[0,1] op_sel_hi:[1,0]
	v_pk_mul_f32 v[32:33], v[0:1], v[32:33]
	v_pk_mul_f32 v[60:61], v[10:11], v[30:31]
	v_pk_mul_f32 v[48:49], v[48:49], v[30:31] op_sel:[0,1] op_sel_hi:[1,0]
	v_pk_mul_f32 v[46:47], v[46:47], v[58:59]
	v_mov_b32_e32 v22, v41
	v_pk_mul_f32 v[40:41], v[0:1], v[58:59]
	v_pk_fma_f32 v[2:3], v[2:3], v[34:35], v[6:7] op_sel:[0,0,1] op_sel_hi:[1,1,0] neg_lo:[0,0,1] neg_hi:[0,0,1]
	v_pk_fma_f32 v[6:7], v[26:27], v[34:35], v[6:7] op_sel:[0,0,1] op_sel_hi:[0,1,0]
	v_pk_fma_f32 v[26:27], v[50:51], v[36:37], v[8:9] op_sel:[0,0,1] op_sel_hi:[1,1,0] neg_lo:[0,0,1] neg_hi:[0,0,1]
	v_pk_fma_f32 v[8:9], v[52:53], v[36:37], v[8:9] op_sel:[0,0,1] op_sel_hi:[0,1,0]
	v_mov_b32_e32 v6, v41
	v_mov_b32_e32 v45, v39
	;; [unrolled: 1-line block ×7, first 2 shown]
	v_pk_fma_f32 v[10:11], v[10:11], v[30:31], v[22:23] op_sel:[0,1,0] op_sel_hi:[1,0,1] neg_lo:[1,0,0] neg_hi:[1,0,0]
	v_mov_b32_e32 v43, v25
	v_mov_b32_e32 v3, v7
	v_pk_fma_f32 v[0:1], v[0:1], v[58:59], v[6:7] neg_lo:[1,0,0] neg_hi:[1,0,0]
	v_pk_add_f32 v[8:9], v[26:27], v[44:45]
	v_pk_add_f32 v[24:25], v[26:27], v[44:45] neg_lo:[0,1] neg_hi:[0,1]
	v_pk_add_f32 v[26:27], v[32:33], v[46:47]
	v_pk_add_f32 v[30:31], v[60:61], v[48:49]
	;; [unrolled: 1-line block ×3, first 2 shown]
	v_mov_b32_e32 v1, v26
	v_mov_b32_e32 v11, v30
	v_pk_add_f32 v[2:3], v[2:3], v[42:43] neg_lo:[0,1] neg_hi:[0,1]
	v_mov_b32_e32 v33, v10
	v_mov_b32_e32 v32, v9
	;; [unrolled: 1-line block ×4, first 2 shown]
	v_pk_add_f32 v[0:1], v[0:1], v[10:11] neg_lo:[0,1] neg_hi:[0,1]
	v_mov_b32_e32 v39, v3
	v_pk_add_f32 v[42:43], v[30:31], v[26:27]
	v_pk_add_f32 v[10:11], v[32:33], v[40:41]
	v_mov_b32_e32 v36, v0
	v_pk_add_f32 v[32:33], v[0:1], v[24:25]
	v_mov_b32_e32 v38, v0
	v_mov_b32_e32 v0, v24
	;; [unrolled: 1-line block ×5, first 2 shown]
	v_pk_add_f32 v[40:41], v[10:11], v[42:43]
	v_mov_b32_e32 v10, v7
	v_mov_b32_e32 v43, v31
	v_pk_add_f32 v[0:1], v[38:39], v[0:1] neg_lo:[0,1] neg_hi:[0,1]
	v_pk_add_f32 v[34:35], v[34:35], v[36:37] neg_lo:[0,1] neg_hi:[0,1]
	;; [unrolled: 1-line block ×3, first 2 shown]
	v_mov_b32_e32 v43, v27
	v_mov_b32_e32 v10, v9
	v_pk_mul_f32 v[0:1], v[0:1], s[16:17]
	v_pk_mul_f32 v[38:39], v[34:35], s[12:13]
	v_pk_fma_f32 v[34:35], v[34:35], s[12:13], v[0:1]
	v_pk_add_f32 v[10:11], v[42:43], v[10:11] neg_lo:[0,1] neg_hi:[0,1]
	s_mov_b32 s12, s15
	s_mov_b32 s13, s14
	v_pk_add_f32 v[4:5], v[4:5], v[40:41]
	v_pk_mul_f32 v[10:11], v[10:11], s[12:13]
	s_mov_b32 s12, 0xbf955555
	v_pk_add_f32 v[32:33], v[32:33], v[2:3]
	v_pk_mul_f32 v[44:45], v[36:37], s[14:15]
	v_pk_fma_f32 v[36:37], v[36:37], s[14:15], v[10:11]
	v_pk_fma_f32 v[40:41], v[40:41], s[12:13], v[4:5] op_sel_hi:[1,0,1]
	v_pk_fma_f32 v[34:35], v[32:33], s[2:3], v[34:35] op_sel_hi:[1,0,1]
	v_pk_add_f32 v[36:37], v[36:37], v[40:41]
	v_mov_b32_e32 v30, v9
	v_pk_add_f32 v[42:43], v[36:37], v[34:35]
	v_pk_add_f32 v[34:35], v[36:37], v[34:35] neg_lo:[0,1] neg_hi:[0,1]
	v_mov_b32_e32 v36, v42
	v_mov_b32_e32 v37, v35
	;; [unrolled: 1-line block ×3, first 2 shown]
	ds_write2_b64 v21, v[4:5], v[36:37] offset1:150
	v_pk_add_f32 v[2:3], v[24:25], v[2:3] neg_lo:[0,1] neg_hi:[0,1]
	s_mov_b32 s12, 0xbf5ff5aa
	v_mov_b32_e32 v4, v38
	v_mov_b32_e32 v5, v1
	v_pk_add_f32 v[6:7], v[30:31], v[26:27] neg_lo:[0,1] neg_hi:[0,1]
	s_mov_b32 s14, 0x3f3bfb3b
	v_mov_b32_e32 v8, v44
	v_mov_b32_e32 v9, v11
	;; [unrolled: 1-line block ×4, first 2 shown]
	v_pk_fma_f32 v[4:5], v[2:3], s[12:13], v[4:5] op_sel_hi:[1,0,1] neg_lo:[1,0,1] neg_hi:[1,0,1]
	v_pk_fma_f32 v[8:9], v[6:7], s[14:15], v[8:9] op_sel_hi:[1,0,1] neg_lo:[1,0,1] neg_hi:[1,0,1]
	;; [unrolled: 1-line block ×4, first 2 shown]
	v_pk_fma_f32 v[4:5], v[32:33], s[2:3], v[4:5] op_sel_hi:[1,0,1]
	v_pk_add_f32 v[8:9], v[8:9], v[40:41]
	v_pk_fma_f32 v[0:1], v[32:33], s[2:3], v[0:1] op_sel_hi:[1,0,1]
	v_pk_add_f32 v[2:3], v[2:3], v[40:41]
	v_pk_add_f32 v[24:25], v[8:9], v[4:5]
	v_pk_add_f32 v[4:5], v[8:9], v[4:5] neg_lo:[0,1] neg_hi:[0,1]
	v_pk_add_f32 v[6:7], v[2:3], v[0:1] neg_lo:[0,1] neg_hi:[0,1]
	v_pk_add_f32 v[0:1], v[2:3], v[0:1]
	v_mov_b32_e32 v8, v24
	v_mov_b32_e32 v9, v5
	;; [unrolled: 1-line block ×4, first 2 shown]
	v_add_u32_e32 v1, 0x800, v21
	ds_write2_b64 v1, v[8:9], v[2:3] offset0:44 offset1:194
	v_mov_b32_e32 v1, v7
	v_mov_b32_e32 v5, v25
	v_add_u32_e32 v2, 0x1000, v21
	v_mov_b32_e32 v35, v43
	ds_write2_b64 v2, v[0:1], v[4:5] offset0:88 offset1:238
	ds_write_b64 v21, v[34:35] offset:7200
.LBB0_23:
	s_or_b64 exec, exec, s[10:11]
	s_waitcnt lgkmcnt(0)
	s_barrier
	ds_read_b64 v[2:3], v21
	s_add_u32 s8, s8, 0x20c0
	s_addc_u32 s9, s9, 0
	v_sub_u32_e32 v4, 0, v17
	v_cmp_ne_u32_e64 s[2:3], 0, v16
                                        ; implicit-def: $vgpr1
                                        ; implicit-def: $vgpr0
	s_and_saveexec_b64 s[10:11], s[2:3]
	s_xor_b64 s[2:3], exec, s[10:11]
	s_cbranch_execz .LBB0_25
; %bb.24:
	v_mov_b32_e32 v17, 0
	v_lshl_add_u64 v[0:1], v[16:17], 3, s[8:9]
	global_load_dwordx2 v[0:1], v[0:1], off
	ds_read_b64 v[6:7], v4 offset:8400
	s_waitcnt lgkmcnt(0)
	v_pk_add_f32 v[8:9], v[6:7], v[2:3]
	v_pk_add_f32 v[2:3], v[2:3], v[6:7] neg_lo:[0,1] neg_hi:[0,1]
	v_pk_mul_f32 v[6:7], v[8:9], 0.5 op_sel_hi:[1,0]
	v_mul_f32_e32 v5, 0.5, v2
	v_mul_f32_e32 v11, 0.5, v3
	s_waitcnt vmcnt(0)
	v_mul_f32_e32 v2, v1, v5
	v_mov_b32_e32 v3, v0
	v_fma_f32 v10, v1, v5, v6
	v_fma_f32 v17, v7, v1, v11
	v_fma_f32 v1, v7, v1, -v11
	v_pk_mul_f32 v[6:7], v[6:7], v[2:3]
	v_pk_fma_f32 v[2:3], v[8:9], 0.5, v[2:3] op_sel_hi:[1,0,1] neg_lo:[0,0,1] neg_hi:[0,0,1]
	v_mov_b32_e32 v11, v7
	v_fma_f32 v3, -v0, v5, v17
	v_fma_f32 v0, -v0, v5, v1
	v_mov_b32_e32 v1, v2
	ds_write_b32 v21, v3 offset:4
	ds_write_b32 v4, v0 offset:8404
	v_pk_add_f32 v[0:1], v[0:1], v[10:11] neg_lo:[0,1] neg_hi:[0,1]
                                        ; implicit-def: $vgpr2_vgpr3
	s_nop 0
	v_add_f32_e32 v0, v7, v10
.LBB0_25:
	s_or_saveexec_b64 s[2:3], s[2:3]
	v_sub_u32_e32 v5, 0, v19
	s_xor_b64 exec, exec, s[2:3]
	s_cbranch_execz .LBB0_27
; %bb.26:
	v_mov_b32_e32 v6, 0
	ds_write_b32 v21, v6 offset:4
	ds_write_b32 v4, v6 offset:8404
	ds_read_b32 v7, v6 offset:4204
	s_waitcnt lgkmcnt(3)
	v_pk_add_f32 v[0:1], v[2:3], v[2:3] op_sel:[0,1] op_sel_hi:[0,1] neg_lo:[0,1] neg_hi:[0,1]
	s_waitcnt lgkmcnt(0)
	v_xor_b32_e32 v0, 0x80000000, v7
	ds_write_b32 v6, v0 offset:4204
	v_add_f32_e32 v0, v2, v3
.LBB0_27:
	s_or_b64 exec, exec, s[2:3]
	v_mov_b32_e32 v19, 0
	s_waitcnt lgkmcnt(0)
	v_lshl_add_u64 v[2:3], v[18:19], 3, s[8:9]
	global_load_dwordx2 v[2:3], v[2:3], off
	ds_write_b32 v21, v0
	ds_write_b32 v4, v1 offset:8400
	v_add_u32_e32 v5, v28, v5
	ds_read_b64 v[6:7], v5
	ds_read_b64 v[8:9], v4 offset:6720
	v_mov_b32_e32 v1, 0.5
	v_mov_b32_e32 v10, v1
	s_waitcnt lgkmcnt(0)
	v_pk_add_f32 v[24:25], v[6:7], v[8:9]
	v_pk_add_f32 v[6:7], v[6:7], v[8:9] neg_lo:[0,1] neg_hi:[0,1]
	v_mov_b32_e32 v8, v25
	v_mov_b32_e32 v9, v6
	v_pk_mul_f32 v[8:9], v[8:9], 0.5 op_sel_hi:[1,0]
	s_waitcnt vmcnt(0)
	v_mov_b32_e32 v0, v3
	v_mov_b32_e32 v6, v9
	;; [unrolled: 1-line block ×4, first 2 shown]
	v_pk_mul_f32 v[6:7], v[0:1], v[6:7]
	s_nop 0
	v_pk_fma_f32 v[26:27], v[24:25], v[10:11], v[6:7]
	v_pk_fma_f32 v[6:7], v[24:25], v[10:11], v[6:7] neg_lo:[0,0,1] neg_hi:[0,0,1]
	v_pk_fma_f32 v[10:11], v[2:3], v[8:9], v[26:27]
	v_pk_fma_f32 v[24:25], v[2:3], v[8:9], v[26:27] op_sel_hi:[0,1,1] neg_lo:[1,0,0] neg_hi:[1,0,0]
	v_mov_b32_e32 v11, v25
	v_pk_fma_f32 v[2:3], v[2:3], v[8:9], v[6:7] op_sel_hi:[0,1,1] neg_lo:[1,0,0] neg_hi:[1,0,0]
	ds_write_b64 v5, v[10:11]
	ds_write_b64 v4, v[2:3] offset:6720
	s_and_saveexec_b64 s[2:3], vcc
	s_cbranch_execz .LBB0_29
; %bb.28:
	v_mov_b32_e32 v21, v19
	v_lshl_add_u64 v[2:3], v[20:21], 3, s[8:9]
	global_load_dwordx2 v[2:3], v[2:3], off
	ds_read_b64 v[6:7], v23
	ds_read_b64 v[8:9], v4 offset:5040
	v_mov_b32_e32 v10, v1
	s_waitcnt lgkmcnt(0)
	v_pk_add_f32 v[18:19], v[6:7], v[8:9]
	v_pk_add_f32 v[6:7], v[6:7], v[8:9] neg_lo:[0,1] neg_hi:[0,1]
	v_mov_b32_e32 v8, v19
	v_mov_b32_e32 v9, v6
	v_pk_mul_f32 v[8:9], v[8:9], 0.5 op_sel_hi:[1,0]
	s_waitcnt vmcnt(0)
	v_mov_b32_e32 v0, v3
	v_mov_b32_e32 v6, v9
	;; [unrolled: 1-line block ×4, first 2 shown]
	v_pk_mul_f32 v[0:1], v[0:1], v[6:7]
	s_nop 0
	v_pk_fma_f32 v[6:7], v[18:19], v[10:11], v[0:1]
	v_pk_fma_f32 v[0:1], v[18:19], v[10:11], v[0:1] neg_lo:[0,0,1] neg_hi:[0,0,1]
	v_pk_fma_f32 v[10:11], v[2:3], v[8:9], v[6:7]
	v_pk_fma_f32 v[6:7], v[2:3], v[8:9], v[6:7] op_sel_hi:[0,1,1] neg_lo:[1,0,0] neg_hi:[1,0,0]
	v_mov_b32_e32 v11, v7
	v_pk_fma_f32 v[0:1], v[2:3], v[8:9], v[0:1] op_sel_hi:[0,1,1] neg_lo:[1,0,0] neg_hi:[1,0,0]
	ds_write_b64 v23, v[10:11]
	ds_write_b64 v4, v[0:1] offset:5040
.LBB0_29:
	s_or_b64 exec, exec, s[2:3]
	s_waitcnt lgkmcnt(0)
	s_barrier
	s_and_saveexec_b64 s[2:3], s[0:1]
	s_cbranch_execz .LBB0_32
; %bb.30:
	v_mul_lo_u32 v2, s5, v14
	v_mul_lo_u32 v3, s4, v15
	v_mad_u64_u32 v[0:1], s[0:1], s4, v14, 0
	v_lshl_add_u32 v10, v16, 3, 0
	v_add3_u32 v1, v1, v3, v2
	ds_read2_b64 v[2:5], v10 offset1:210
	v_lshl_add_u64 v[0:1], v[0:1], 3, s[6:7]
	v_mov_b32_e32 v17, 0
	v_lshl_add_u64 v[0:1], v[12:13], 3, v[0:1]
	v_lshl_add_u64 v[6:7], v[16:17], 3, v[0:1]
	s_waitcnt lgkmcnt(0)
	global_store_dwordx2 v[6:7], v[2:3], off
	v_add_u32_e32 v6, 0xc00, v10
	ds_read2_b64 v[6:9], v6 offset0:36 offset1:246
	v_add_u32_e32 v2, 0xd2, v16
	v_mov_b32_e32 v3, v17
	v_lshl_add_u64 v[2:3], v[2:3], 3, v[0:1]
	global_store_dwordx2 v[2:3], v[4:5], off
	v_add_u32_e32 v2, 0x1a4, v16
	v_mov_b32_e32 v3, v17
	v_lshl_add_u64 v[2:3], v[2:3], 3, v[0:1]
	ds_read_b64 v[4:5], v10 offset:6720
	s_waitcnt lgkmcnt(1)
	global_store_dwordx2 v[2:3], v[6:7], off
	v_add_u32_e32 v2, 0x276, v16
	v_mov_b32_e32 v3, v17
	v_lshl_add_u64 v[2:3], v[2:3], 3, v[0:1]
	global_store_dwordx2 v[2:3], v[8:9], off
	v_add_u32_e32 v2, 0x348, v16
	v_mov_b32_e32 v3, v17
	s_movk_i32 s0, 0xd1
	v_lshl_add_u64 v[2:3], v[2:3], 3, v[0:1]
	v_cmp_eq_u32_e32 vcc, s0, v16
	s_waitcnt lgkmcnt(0)
	global_store_dwordx2 v[2:3], v[4:5], off
	s_and_b64 exec, exec, vcc
	s_cbranch_execz .LBB0_32
; %bb.31:
	ds_read_b64 v[2:3], v17 offset:8400
	v_add_co_u32_e32 v0, vcc, 0x2000, v0
	s_nop 1
	v_addc_co_u32_e32 v1, vcc, 0, v1, vcc
	s_waitcnt lgkmcnt(0)
	global_store_dwordx2 v[0:1], v[2:3], off offset:208
.LBB0_32:
	s_endpgm
	.section	.rodata,"a",@progbits
	.p2align	6, 0x0
	.amdhsa_kernel fft_rtc_back_len1050_factors_2_3_5_5_7_wgs_210_tpt_210_sp_op_CI_CI_unitstride_sbrr_R2C_dirReg
		.amdhsa_group_segment_fixed_size 0
		.amdhsa_private_segment_fixed_size 0
		.amdhsa_kernarg_size 104
		.amdhsa_user_sgpr_count 2
		.amdhsa_user_sgpr_dispatch_ptr 0
		.amdhsa_user_sgpr_queue_ptr 0
		.amdhsa_user_sgpr_kernarg_segment_ptr 1
		.amdhsa_user_sgpr_dispatch_id 0
		.amdhsa_user_sgpr_kernarg_preload_length 0
		.amdhsa_user_sgpr_kernarg_preload_offset 0
		.amdhsa_user_sgpr_private_segment_size 0
		.amdhsa_uses_dynamic_stack 0
		.amdhsa_enable_private_segment 0
		.amdhsa_system_sgpr_workgroup_id_x 1
		.amdhsa_system_sgpr_workgroup_id_y 0
		.amdhsa_system_sgpr_workgroup_id_z 0
		.amdhsa_system_sgpr_workgroup_info 0
		.amdhsa_system_vgpr_workitem_id 0
		.amdhsa_next_free_vgpr 62
		.amdhsa_next_free_sgpr 28
		.amdhsa_accum_offset 64
		.amdhsa_reserve_vcc 1
		.amdhsa_float_round_mode_32 0
		.amdhsa_float_round_mode_16_64 0
		.amdhsa_float_denorm_mode_32 3
		.amdhsa_float_denorm_mode_16_64 3
		.amdhsa_dx10_clamp 1
		.amdhsa_ieee_mode 1
		.amdhsa_fp16_overflow 0
		.amdhsa_tg_split 0
		.amdhsa_exception_fp_ieee_invalid_op 0
		.amdhsa_exception_fp_denorm_src 0
		.amdhsa_exception_fp_ieee_div_zero 0
		.amdhsa_exception_fp_ieee_overflow 0
		.amdhsa_exception_fp_ieee_underflow 0
		.amdhsa_exception_fp_ieee_inexact 0
		.amdhsa_exception_int_div_zero 0
	.end_amdhsa_kernel
	.text
.Lfunc_end0:
	.size	fft_rtc_back_len1050_factors_2_3_5_5_7_wgs_210_tpt_210_sp_op_CI_CI_unitstride_sbrr_R2C_dirReg, .Lfunc_end0-fft_rtc_back_len1050_factors_2_3_5_5_7_wgs_210_tpt_210_sp_op_CI_CI_unitstride_sbrr_R2C_dirReg
                                        ; -- End function
	.section	.AMDGPU.csdata,"",@progbits
; Kernel info:
; codeLenInByte = 5308
; NumSgprs: 34
; NumVgprs: 62
; NumAgprs: 0
; TotalNumVgprs: 62
; ScratchSize: 0
; MemoryBound: 0
; FloatMode: 240
; IeeeMode: 1
; LDSByteSize: 0 bytes/workgroup (compile time only)
; SGPRBlocks: 4
; VGPRBlocks: 7
; NumSGPRsForWavesPerEU: 34
; NumVGPRsForWavesPerEU: 62
; AccumOffset: 64
; Occupancy: 8
; WaveLimiterHint : 1
; COMPUTE_PGM_RSRC2:SCRATCH_EN: 0
; COMPUTE_PGM_RSRC2:USER_SGPR: 2
; COMPUTE_PGM_RSRC2:TRAP_HANDLER: 0
; COMPUTE_PGM_RSRC2:TGID_X_EN: 1
; COMPUTE_PGM_RSRC2:TGID_Y_EN: 0
; COMPUTE_PGM_RSRC2:TGID_Z_EN: 0
; COMPUTE_PGM_RSRC2:TIDIG_COMP_CNT: 0
; COMPUTE_PGM_RSRC3_GFX90A:ACCUM_OFFSET: 15
; COMPUTE_PGM_RSRC3_GFX90A:TG_SPLIT: 0
	.text
	.p2alignl 6, 3212836864
	.fill 256, 4, 3212836864
	.type	__hip_cuid_42696e7b1f0082ba,@object ; @__hip_cuid_42696e7b1f0082ba
	.section	.bss,"aw",@nobits
	.globl	__hip_cuid_42696e7b1f0082ba
__hip_cuid_42696e7b1f0082ba:
	.byte	0                               ; 0x0
	.size	__hip_cuid_42696e7b1f0082ba, 1

	.ident	"AMD clang version 19.0.0git (https://github.com/RadeonOpenCompute/llvm-project roc-6.4.0 25133 c7fe45cf4b819c5991fe208aaa96edf142730f1d)"
	.section	".note.GNU-stack","",@progbits
	.addrsig
	.addrsig_sym __hip_cuid_42696e7b1f0082ba
	.amdgpu_metadata
---
amdhsa.kernels:
  - .agpr_count:     0
    .args:
      - .actual_access:  read_only
        .address_space:  global
        .offset:         0
        .size:           8
        .value_kind:     global_buffer
      - .offset:         8
        .size:           8
        .value_kind:     by_value
      - .actual_access:  read_only
        .address_space:  global
        .offset:         16
        .size:           8
        .value_kind:     global_buffer
      - .actual_access:  read_only
        .address_space:  global
        .offset:         24
        .size:           8
        .value_kind:     global_buffer
      - .actual_access:  read_only
        .address_space:  global
        .offset:         32
        .size:           8
        .value_kind:     global_buffer
      - .offset:         40
        .size:           8
        .value_kind:     by_value
      - .actual_access:  read_only
        .address_space:  global
        .offset:         48
        .size:           8
        .value_kind:     global_buffer
      - .actual_access:  read_only
        .address_space:  global
        .offset:         56
        .size:           8
        .value_kind:     global_buffer
      - .offset:         64
        .size:           4
        .value_kind:     by_value
      - .actual_access:  read_only
        .address_space:  global
        .offset:         72
        .size:           8
        .value_kind:     global_buffer
      - .actual_access:  read_only
        .address_space:  global
        .offset:         80
        .size:           8
        .value_kind:     global_buffer
      - .actual_access:  read_only
        .address_space:  global
        .offset:         88
        .size:           8
        .value_kind:     global_buffer
      - .actual_access:  write_only
        .address_space:  global
        .offset:         96
        .size:           8
        .value_kind:     global_buffer
    .group_segment_fixed_size: 0
    .kernarg_segment_align: 8
    .kernarg_segment_size: 104
    .language:       OpenCL C
    .language_version:
      - 2
      - 0
    .max_flat_workgroup_size: 210
    .name:           fft_rtc_back_len1050_factors_2_3_5_5_7_wgs_210_tpt_210_sp_op_CI_CI_unitstride_sbrr_R2C_dirReg
    .private_segment_fixed_size: 0
    .sgpr_count:     34
    .sgpr_spill_count: 0
    .symbol:         fft_rtc_back_len1050_factors_2_3_5_5_7_wgs_210_tpt_210_sp_op_CI_CI_unitstride_sbrr_R2C_dirReg.kd
    .uniform_work_group_size: 1
    .uses_dynamic_stack: false
    .vgpr_count:     62
    .vgpr_spill_count: 0
    .wavefront_size: 64
amdhsa.target:   amdgcn-amd-amdhsa--gfx950
amdhsa.version:
  - 1
  - 2
...

	.end_amdgpu_metadata
